;; amdgpu-corpus repo=ROCm/rocFFT kind=compiled arch=gfx1030 opt=O3
	.text
	.amdgcn_target "amdgcn-amd-amdhsa--gfx1030"
	.amdhsa_code_object_version 6
	.protected	bluestein_single_fwd_len13_dim1_dp_op_CI_CI ; -- Begin function bluestein_single_fwd_len13_dim1_dp_op_CI_CI
	.globl	bluestein_single_fwd_len13_dim1_dp_op_CI_CI
	.p2align	8
	.type	bluestein_single_fwd_len13_dim1_dp_op_CI_CI,@function
bluestein_single_fwd_len13_dim1_dp_op_CI_CI: ; @bluestein_single_fwd_len13_dim1_dp_op_CI_CI
; %bb.0:
	s_load_dwordx4 s[8:11], s[4:5], 0x28
	v_lshl_or_b32 v48, s6, 6, v0
	v_mov_b32_e32 v49, 0
	s_mov_b32 s0, exec_lo
	s_waitcnt lgkmcnt(0)
	v_cmpx_gt_u64_e64 s[8:9], v[48:49]
	s_cbranch_execz .LBB0_2
; %bb.1:
	s_clause 0x1
	s_load_dwordx4 s[0:3], s[4:5], 0x18
	s_load_dwordx2 s[6:7], s[4:5], 0x0
                                        ; implicit-def: $vgpr210 : SGPR spill to VGPR lane
	v_mul_u32_u24_e32 v133, 0xd0, v0
	v_writelane_b32 v210, s4, 0
	s_mov_b32 s22, 0x24c2f84
	s_mov_b32 s20, 0x4bc48dbf
	;; [unrolled: 1-line block ×4, first 2 shown]
	v_writelane_b32 v210, s5, 1
	s_mov_b32 s21, 0xbfcea1e5
	s_mov_b32 s35, 0xbfef11f4
	s_waitcnt lgkmcnt(0)
	s_load_dwordx4 s[24:27], s[0:1], 0x0
	s_mov_b64 s[84:85], s[6:7]
	s_waitcnt lgkmcnt(0)
	v_mad_u64_u32 v[1:2], null, s26, v48, 0
	s_lshl_b64 s[0:1], s[24:25], 4
	s_lshl_b64 s[4:5], s[24:25], 6
	v_mad_u64_u32 v[2:3], null, s27, v48, v[2:3]
	s_mov_b32 s26, 0x2ef20147
	s_mov_b32 s27, 0xbfedeba7
	v_lshlrev_b64 v[1:2], 4, v[1:2]
	v_add_co_u32 v45, vcc_lo, s10, v1
	v_add_co_ci_u32_e32 v46, vcc_lo, s11, v2, vcc_lo
	v_add_co_u32 v5, vcc_lo, v45, s0
	v_add_co_ci_u32_e32 v6, vcc_lo, s1, v46, vcc_lo
	s_lshl_b64 s[0:1], s[24:25], 5
	v_mad_u64_u32 v[21:22], null, s24, 48, v[45:46]
	s_clause 0x1
	global_load_dwordx4 v[1:4], v[45:46], off
	global_load_dwordx4 v[5:8], v[5:6], off
	v_add_co_u32 v9, vcc_lo, v45, s0
	v_add_co_ci_u32_e32 v10, vcc_lo, s1, v46, vcc_lo
	v_add_co_u32 v13, vcc_lo, v45, s4
	v_add_co_ci_u32_e32 v14, vcc_lo, s5, v46, vcc_lo
	global_load_dwordx4 v[9:12], v[9:10], off
	v_mov_b32_e32 v17, v22
	s_lshl_b64 s[0:1], s[24:25], 7
	global_load_dwordx4 v[13:16], v[13:14], off
	v_mad_u64_u32 v[29:30], null, 0x60, s24, v[45:46]
	v_mad_u64_u32 v[22:23], null, s25, 48, v[17:18]
	v_add_co_u32 v17, vcc_lo, v45, s0
	v_add_co_ci_u32_e32 v18, vcc_lo, s1, v46, vcc_lo
	v_mad_u64_u32 v[25:26], null, 0x50, s24, v[45:46]
	s_clause 0x1
	global_load_dwordx4 v[21:24], v[21:22], off
	global_load_dwordx4 v[17:20], v[17:18], off
	v_mov_b32_e32 v27, v30
	v_mad_u64_u32 v[33:34], null, 0x70, s24, v[45:46]
	v_mad_u64_u32 v[37:38], null, 0x90, s24, v[45:46]
	;; [unrolled: 1-line block ×6, first 2 shown]
	v_mov_b32_e32 v26, v30
	v_mad_u64_u32 v[53:54], null, 0xc0, s24, v[45:46]
	v_mov_b32_e32 v30, v27
	s_clause 0x3
	global_load_dwordx4 v[25:28], v[25:26], off
	global_load_dwordx4 v[29:32], v[29:30], off
	;; [unrolled: 1-line block ×4, first 2 shown]
	s_clause 0x3
	s_load_dwordx16 s[68:83], s[6:7], 0x0
	s_load_dwordx16 s[52:67], s[6:7], 0x40
	;; [unrolled: 1-line block ×4, first 2 shown]
	s_load_dwordx4 s[28:31], s[2:3], 0x0
	s_mov_b32 s2, 0x42a4c3d2
	s_mov_b32 s3, 0xbfea55e2
	;; [unrolled: 1-line block ×4, first 2 shown]
	s_mov_b32 vcc_lo, 0xd0032e0c
	s_mov_b32 vcc_hi, 0xbfe7f3cc
	s_waitcnt lgkmcnt(0)
	v_writelane_b32 v210, s4, 2
	v_writelane_b32 v210, s5, 3
	;; [unrolled: 1-line block ×16, first 2 shown]
	s_mov_b32 s16, 0x4267c47c
	s_mov_b32 s17, 0xbfddbe06
	;; [unrolled: 1-line block ×12, first 2 shown]
	s_waitcnt vmcnt(9)
	v_mul_f64 v[41:42], v[3:4], s[70:71]
	s_waitcnt vmcnt(8)
	v_mul_f64 v[49:50], v[7:8], s[74:75]
	v_mul_f64 v[51:52], v[5:6], s[74:75]
	;; [unrolled: 1-line block ×3, first 2 shown]
	s_waitcnt vmcnt(7)
	v_mul_f64 v[55:56], v[11:12], s[78:79]
	v_mul_f64 v[57:58], v[9:10], s[78:79]
	v_fma_f64 v[1:2], v[1:2], s[68:69], v[41:42]
	v_mov_b32_e32 v41, v54
	v_fma_f64 v[5:6], v[5:6], s[72:73], v[49:50]
	s_waitcnt vmcnt(6)
	v_mul_f64 v[49:50], v[15:16], s[54:55]
	v_fma_f64 v[7:8], v[7:8], s[72:73], -v[51:52]
	v_mul_f64 v[51:52], v[13:14], s[54:55]
	v_mad_u64_u32 v[41:42], null, 0xc0, s25, v[41:42]
	v_fma_f64 v[3:4], v[3:4], s[68:69], -v[43:44]
	v_fma_f64 v[9:10], v[9:10], s[76:77], v[55:56]
	s_waitcnt vmcnt(4)
	v_mul_f64 v[55:56], v[17:18], s[38:39]
	v_fma_f64 v[11:12], v[11:12], s[76:77], -v[57:58]
	v_mov_b32_e32 v54, v41
	global_load_dwordx4 v[41:44], v[53:54], off
	v_mul_f64 v[53:54], v[19:20], s[38:39]
	v_fma_f64 v[13:14], v[13:14], s[52:53], v[49:50]
	v_mul_f64 v[49:50], v[23:24], s[82:83]
	v_fma_f64 v[15:16], v[15:16], s[52:53], -v[51:52]
	v_mul_f64 v[51:52], v[21:22], s[82:83]
	s_waitcnt vmcnt(1)
	v_mul_f64 v[57:58], v[39:40], s[42:43]
	v_fma_f64 v[19:20], v[19:20], s[36:37], -v[55:56]
	v_mul_f64 v[55:56], v[25:26], s[58:59]
	v_fma_f64 v[17:18], v[17:18], s[36:37], v[53:54]
	v_mul_f64 v[53:54], v[27:28], s[58:59]
	v_fma_f64 v[21:22], v[21:22], s[80:81], v[49:50]
	v_mul_f64 v[49:50], v[31:32], s[62:63]
	v_fma_f64 v[23:24], v[23:24], s[80:81], -v[51:52]
	v_mul_f64 v[51:52], v[29:30], s[62:63]
	v_fma_f64 v[27:28], v[27:28], s[56:57], -v[55:56]
	v_mul_f64 v[55:56], v[35:36], s[66:67]
	v_fma_f64 v[25:26], v[25:26], s[56:57], v[53:54]
	v_mad_u64_u32 v[53:54], null, 0xa0, s24, v[45:46]
	v_mad_u64_u32 v[45:46], null, 0xb0, s24, v[45:46]
	s_mov_b32 s24, s10
	v_fma_f64 v[29:30], v[29:30], s[60:61], v[49:50]
	v_mul_f64 v[49:50], v[33:34], s[66:67]
	v_fma_f64 v[31:32], v[31:32], s[60:61], -v[51:52]
	v_mov_b32_e32 v47, v54
	v_mad_u64_u32 v[51:52], null, 0xa0, s25, v[47:48]
	v_mad_u64_u32 v[46:47], null, 0xb0, s25, v[46:47]
	v_fma_f64 v[33:34], v[33:34], s[64:65], v[55:56]
	s_mov_b32 s25, 0x3fefc445
	v_mov_b32_e32 v54, v51
	v_fma_f64 v[35:36], v[35:36], s[64:65], -v[49:50]
	global_load_dwordx4 v[49:52], v[53:54], off
	v_mul_f64 v[53:54], v[37:38], s[42:43]
	v_fma_f64 v[37:38], v[37:38], s[40:41], v[57:58]
	v_fma_f64 v[39:40], v[39:40], s[40:41], -v[53:54]
	global_load_dwordx4 v[53:56], v[45:46], off
	s_waitcnt vmcnt(1)
	v_mul_f64 v[45:46], v[51:52], s[46:47]
	v_mul_f64 v[57:58], v[49:50], s[46:47]
	v_fma_f64 v[49:50], v[49:50], s[44:45], v[45:46]
	v_fma_f64 v[51:52], v[51:52], s[44:45], -v[57:58]
	s_waitcnt vmcnt(0)
	v_mul_f64 v[45:46], v[55:56], s[50:51]
	v_mul_f64 v[57:58], v[53:54], s[50:51]
	v_fma_f64 v[53:54], v[53:54], s[48:49], v[45:46]
	v_fma_f64 v[55:56], v[55:56], s[48:49], -v[57:58]
	v_mul_f64 v[45:46], v[43:44], s[6:7]
	v_mul_f64 v[57:58], v[41:42], s[6:7]
	s_mov_b32 s6, 0x1ea71119
	s_mov_b32 s7, 0x3fe22d96
	v_fma_f64 v[41:42], v[41:42], s[4:5], v[45:46]
	v_fma_f64 v[43:44], v[43:44], s[4:5], -v[57:58]
	ds_write_b128 v133, v[1:4]
	ds_write_b128 v133, v[5:8] offset:16
	ds_write_b128 v133, v[9:12] offset:32
	;; [unrolled: 1-line block ×12, first 2 shown]
	s_waitcnt lgkmcnt(0)
	s_barrier
	buffer_gl0_inv
	ds_read_b128 v[4:7], v133 offset:16
	ds_read_b128 v[8:11], v133
	ds_read_b128 v[16:19], v133 offset:32
	ds_read_b128 v[12:15], v133 offset:48
	;; [unrolled: 1-line block ×4, first 2 shown]
	s_mov_b32 s4, 0x66966769
	s_mov_b32 s5, 0xbfefc445
	s_waitcnt lgkmcnt(4)
	v_add_f64 v[0:1], v[8:9], v[4:5]
	v_add_f64 v[2:3], v[10:11], v[6:7]
	s_waitcnt lgkmcnt(3)
	v_add_f64 v[0:1], v[0:1], v[16:17]
	v_add_f64 v[2:3], v[2:3], v[18:19]
	;; [unrolled: 3-line block ×5, first 2 shown]
	ds_read_b128 v[28:31], v133 offset:96
	ds_read_b128 v[0:3], v133 offset:192
	;; [unrolled: 1-line block ×5, first 2 shown]
	s_waitcnt lgkmcnt(3)
	v_add_f64 v[46:47], v[6:7], -v[2:3]
	v_add_f64 v[38:39], v[36:37], v[28:29]
	v_add_f64 v[40:41], v[40:41], v[30:31]
	s_waitcnt lgkmcnt(2)
	v_add_f64 v[36:37], v[28:29], v[32:33]
	v_add_f64 v[53:54], v[28:29], -v[32:33]
	s_waitcnt lgkmcnt(1)
	v_add_f64 v[28:29], v[26:27], v[44:45]
	v_add_f64 v[59:60], v[26:27], -v[44:45]
	v_add_f64 v[55:56], v[30:31], -v[34:35]
	;; [unrolled: 1-line block ×3, first 2 shown]
	v_add_f64 v[6:7], v[6:7], v[2:3]
	s_waitcnt lgkmcnt(0)
	v_add_f64 v[117:118], v[22:23], -v[51:52]
	v_add_f64 v[115:116], v[20:21], -v[49:50]
	v_mul_f64 v[26:27], v[46:47], s[2:3]
	v_add_f64 v[61:62], v[38:39], v[32:33]
	v_add_f64 v[40:41], v[40:41], v[34:35]
	s_mov_b32 s2, 0x4bc48dbf
	s_mov_b32 s3, 0xbfcea1e5
	v_add_f64 v[38:39], v[30:31], v[34:35]
	v_add_f64 v[32:33], v[4:5], v[0:1]
	v_add_f64 v[4:5], v[4:5], -v[0:1]
	v_add_f64 v[30:31], v[24:25], v[42:43]
	v_mul_f64 v[24:25], v[46:47], s[16:17]
	v_mul_f64 v[34:35], v[46:47], s[4:5]
	s_mov_b32 s4, 0xe00740e9
	s_mov_b32 s5, 0x3fec55a7
	v_mul_f64 v[131:132], v[117:118], s[18:19]
	v_mul_f64 v[134:135], v[115:116], s[18:19]
	;; [unrolled: 1-line block ×7, first 2 shown]
	v_add_f64 v[65:66], v[61:62], v[42:43]
	v_add_f64 v[67:68], v[40:41], v[44:45]
	v_mul_f64 v[40:41], v[46:47], s[26:27]
	v_mul_f64 v[42:43], v[46:47], s[0:1]
	;; [unrolled: 1-line block ×3, first 2 shown]
	v_fma_f64 v[61:62], v[32:33], s[6:7], -v[26:27]
	v_fma_f64 v[26:27], v[32:33], s[6:7], v[26:27]
	v_mul_f64 v[79:80], v[4:5], s[26:27]
	v_fma_f64 v[46:47], v[32:33], s[4:5], -v[24:25]
	v_fma_f64 v[24:25], v[32:33], s[4:5], v[24:25]
	v_fma_f64 v[63:64], v[32:33], s[8:9], -v[34:35]
	v_fma_f64 v[69:70], v[32:33], s[8:9], v[34:35]
	v_mul_f64 v[34:35], v[4:5], s[14:15]
	v_mul_f64 v[81:82], v[4:5], s[22:23]
	s_mov_b32 s3, 0x3fddbe06
	s_mov_b32 s2, s16
	s_mov_b64 s[0:1], s[84:85]
	v_mul_f64 v[136:137], v[55:56], s[2:3]
	v_mul_f64 v[138:139], v[53:54], s[2:3]
	;; [unrolled: 1-line block ×4, first 2 shown]
	v_add_f64 v[119:120], v[65:66], v[49:50]
	v_add_f64 v[121:122], v[67:68], v[51:52]
	v_fma_f64 v[71:72], v[32:33], s[12:13], -v[40:41]
	v_fma_f64 v[40:41], v[32:33], s[12:13], v[40:41]
	v_fma_f64 v[73:74], v[32:33], vcc, -v[42:43]
	v_fma_f64 v[42:43], v[32:33], vcc, v[42:43]
	v_fma_f64 v[75:76], v[32:33], s[34:35], -v[44:45]
	v_fma_f64 v[77:78], v[32:33], s[34:35], v[44:45]
	v_mul_f64 v[32:33], v[4:5], s[16:17]
	v_mul_f64 v[44:45], v[4:5], s[10:11]
	;; [unrolled: 1-line block ×3, first 2 shown]
	v_fma_f64 v[91:92], v[6:7], s[12:13], v[79:80]
	v_fma_f64 v[85:86], v[6:7], s[6:7], v[34:35]
	v_fma_f64 v[87:88], v[6:7], s[6:7], -v[34:35]
	v_fma_f64 v[79:80], v[6:7], s[12:13], -v[79:80]
	v_fma_f64 v[93:94], v[6:7], vcc, v[81:82]
	v_fma_f64 v[81:82], v[6:7], vcc, -v[81:82]
	v_add_f64 v[103:104], v[8:9], v[61:62]
	v_add_f64 v[34:35], v[8:9], v[26:27]
	;; [unrolled: 1-line block ×5, first 2 shown]
	v_mul_f64 v[67:68], v[117:118], s[26:27]
	s_mov_b32 s17, 0x3fedeba7
	v_add_f64 v[105:106], v[8:9], v[71:72]
	v_add_f64 v[107:108], v[8:9], v[40:41]
	;; [unrolled: 1-line block ×6, first 2 shown]
	v_fma_f64 v[83:84], v[6:7], s[4:5], v[32:33]
	v_fma_f64 v[32:33], v[6:7], s[4:5], -v[32:33]
	v_fma_f64 v[95:96], v[6:7], s[34:35], v[4:5]
	v_fma_f64 v[4:5], v[6:7], s[34:35], -v[4:5]
	;; [unrolled: 2-line block ×3, first 2 shown]
	v_add_f64 v[24:25], v[10:11], v[87:88]
	v_add_f64 v[87:88], v[8:9], v[63:64]
	;; [unrolled: 1-line block ×8, first 2 shown]
	v_mul_f64 v[73:74], v[115:116], s[26:27]
	v_mul_f64 v[75:76], v[59:60], s[22:23]
	;; [unrolled: 1-line block ×4, first 2 shown]
	s_mov_b32 s16, s26
	v_add_f64 v[83:84], v[10:11], v[83:84]
	v_add_f64 v[101:102], v[10:11], v[32:33]
	;; [unrolled: 1-line block ×4, first 2 shown]
	ds_read_b128 v[4:7], v133 offset:176
	ds_read_b128 v[69:72], v133 offset:160
	v_add_f64 v[89:90], v[10:11], v[89:90]
	v_add_f64 v[32:33], v[10:11], v[44:45]
	;; [unrolled: 1-line block ×3, first 2 shown]
	s_waitcnt lgkmcnt(1)
	v_add_f64 v[123:124], v[18:19], -v[6:7]
	v_add_f64 v[51:52], v[16:17], v[4:5]
	v_add_f64 v[125:126], v[16:17], -v[4:5]
	s_waitcnt lgkmcnt(0)
	v_add_f64 v[129:130], v[14:15], -v[71:72]
	v_add_f64 v[49:50], v[18:19], v[6:7]
	v_add_f64 v[22:23], v[12:13], v[69:70]
	v_add_f64 v[127:128], v[12:13], -v[69:70]
	v_add_f64 v[20:21], v[14:15], v[71:72]
	v_add_f64 v[71:72], v[121:122], v[71:72]
	v_add_f64 v[69:70], v[119:120], v[69:70]
	v_mul_f64 v[8:9], v[123:124], s[14:15]
	v_mul_f64 v[140:141], v[123:124], s[20:21]
	;; [unrolled: 1-line block ×7, first 2 shown]
	v_fma_f64 v[10:11], v[51:52], s[6:7], -v[8:9]
	v_fma_f64 v[8:9], v[51:52], s[6:7], v[8:9]
	v_fma_f64 v[12:13], v[49:50], s[6:7], v[16:17]
	v_fma_f64 v[14:15], v[22:23], s[8:9], -v[18:19]
	v_fma_f64 v[16:17], v[49:50], s[6:7], -v[16:17]
	v_fma_f64 v[18:19], v[22:23], s[8:9], v[18:19]
	v_add_f64 v[10:11], v[10:11], v[97:98]
	v_add_f64 v[8:9], v[8:9], v[99:100]
	;; [unrolled: 1-line block ×3, first 2 shown]
	v_mul_f64 v[97:98], v[123:124], s[26:27]
	v_add_f64 v[16:17], v[16:17], v[101:102]
	v_mul_f64 v[99:100], v[125:126], s[26:27]
	v_mul_f64 v[101:102], v[129:130], s[20:21]
	;; [unrolled: 1-line block ×3, first 2 shown]
	v_add_f64 v[10:11], v[14:15], v[10:11]
	v_fma_f64 v[14:15], v[20:21], s[8:9], v[65:66]
	v_add_f64 v[8:9], v[18:19], v[8:9]
	v_fma_f64 v[18:19], v[20:21], s[8:9], -v[65:66]
	v_fma_f64 v[65:66], v[22:23], s[34:35], -v[101:102]
	v_add_f64 v[12:13], v[14:15], v[12:13]
	v_fma_f64 v[14:15], v[42:43], s[12:13], -v[67:68]
	v_add_f64 v[16:17], v[18:19], v[16:17]
	v_fma_f64 v[18:19], v[42:43], s[12:13], v[67:68]
	v_add_f64 v[10:11], v[14:15], v[10:11]
	v_fma_f64 v[14:15], v[40:41], s[12:13], v[73:74]
	v_add_f64 v[8:9], v[18:19], v[8:9]
	v_fma_f64 v[18:19], v[40:41], s[12:13], -v[73:74]
	v_add_f64 v[12:13], v[14:15], v[12:13]
	v_fma_f64 v[14:15], v[30:31], vcc, -v[75:76]
	v_add_f64 v[16:17], v[18:19], v[16:17]
	v_fma_f64 v[18:19], v[30:31], vcc, v[75:76]
	v_fma_f64 v[75:76], v[49:50], s[34:35], v[142:143]
	v_add_f64 v[10:11], v[14:15], v[10:11]
	v_fma_f64 v[14:15], v[28:29], vcc, v[77:78]
	v_add_f64 v[8:9], v[18:19], v[8:9]
	v_fma_f64 v[18:19], v[28:29], vcc, -v[77:78]
	v_add_f64 v[75:76], v[75:76], v[89:90]
	v_mul_f64 v[89:90], v[129:130], s[16:17]
	v_add_f64 v[14:15], v[14:15], v[12:13]
	v_fma_f64 v[12:13], v[36:37], s[34:35], -v[79:80]
	v_add_f64 v[16:17], v[18:19], v[16:17]
	v_fma_f64 v[18:19], v[36:37], s[34:35], v[79:80]
	v_fma_f64 v[77:78], v[22:23], s[12:13], -v[89:90]
	v_fma_f64 v[79:80], v[49:50], vcc, v[83:84]
	v_fma_f64 v[83:84], v[49:50], vcc, -v[83:84]
	v_add_f64 v[12:13], v[12:13], v[10:11]
	v_mul_f64 v[10:11], v[53:54], s[20:21]
	v_add_f64 v[8:9], v[18:19], v[8:9]
	v_fma_f64 v[18:19], v[49:50], s[12:13], v[99:100]
	v_add_f64 v[79:80], v[79:80], v[91:92]
	v_add_f64 v[83:84], v[83:84], v[109:110]
	v_fma_f64 v[81:82], v[38:39], s[34:35], v[10:11]
	v_fma_f64 v[10:11], v[38:39], s[34:35], -v[10:11]
	v_add_f64 v[18:19], v[18:19], v[85:86]
	v_mul_f64 v[85:86], v[129:130], s[2:3]
	v_add_f64 v[14:15], v[81:82], v[14:15]
	v_add_f64 v[10:11], v[10:11], v[16:17]
	v_fma_f64 v[16:17], v[51:52], s[12:13], -v[97:98]
	v_mul_f64 v[81:82], v[123:124], s[18:19]
	v_add_f64 v[16:17], v[16:17], v[103:104]
	v_mul_f64 v[103:104], v[127:128], s[20:21]
	s_mov_b32 s21, 0x3fcea1e5
	v_add_f64 v[16:17], v[65:66], v[16:17]
	v_fma_f64 v[65:66], v[20:21], s[34:35], v[103:104]
	v_add_f64 v[18:19], v[65:66], v[18:19]
	v_fma_f64 v[65:66], v[42:43], vcc, -v[131:132]
	v_add_f64 v[16:17], v[65:66], v[16:17]
	v_fma_f64 v[65:66], v[40:41], vcc, v[134:135]
	v_add_f64 v[18:19], v[65:66], v[18:19]
	v_mul_f64 v[65:66], v[59:60], s[24:25]
	v_fma_f64 v[67:68], v[30:31], s[8:9], -v[65:66]
	v_add_f64 v[16:17], v[67:68], v[16:17]
	v_mul_f64 v[67:68], v[57:58], s[24:25]
	v_fma_f64 v[73:74], v[28:29], s[8:9], v[67:68]
	v_add_f64 v[18:19], v[73:74], v[18:19]
	v_fma_f64 v[73:74], v[36:37], s[4:5], -v[136:137]
	v_add_f64 v[16:17], v[73:74], v[16:17]
	v_fma_f64 v[73:74], v[38:39], s[4:5], v[138:139]
	v_add_f64 v[18:19], v[73:74], v[18:19]
	v_fma_f64 v[73:74], v[51:52], s[34:35], -v[140:141]
	v_add_f64 v[73:74], v[73:74], v[87:88]
	v_fma_f64 v[87:88], v[22:23], s[4:5], -v[85:86]
	v_fma_f64 v[85:86], v[22:23], s[4:5], v[85:86]
	v_add_f64 v[73:74], v[77:78], v[73:74]
	v_fma_f64 v[77:78], v[20:21], s[12:13], v[144:145]
	v_add_f64 v[75:76], v[77:78], v[75:76]
	v_fma_f64 v[77:78], v[42:43], s[4:5], -v[146:147]
	v_add_f64 v[73:74], v[77:78], v[73:74]
	v_fma_f64 v[77:78], v[40:41], s[4:5], v[148:149]
	v_add_f64 v[75:76], v[77:78], v[75:76]
	v_fma_f64 v[77:78], v[30:31], s[6:7], -v[150:151]
	v_add_f64 v[73:74], v[77:78], v[73:74]
	v_fma_f64 v[77:78], v[28:29], s[6:7], v[152:153]
	v_add_f64 v[75:76], v[77:78], v[75:76]
	v_fma_f64 v[77:78], v[36:37], vcc, -v[154:155]
	v_add_f64 v[73:74], v[77:78], v[73:74]
	v_fma_f64 v[77:78], v[38:39], vcc, v[156:157]
	v_add_f64 v[75:76], v[77:78], v[75:76]
	v_fma_f64 v[77:78], v[51:52], vcc, -v[81:82]
	v_fma_f64 v[81:82], v[51:52], vcc, v[81:82]
	v_add_f64 v[77:78], v[77:78], v[105:106]
	v_add_f64 v[81:82], v[81:82], v[107:108]
	;; [unrolled: 1-line block ×3, first 2 shown]
	v_mul_f64 v[87:88], v[127:128], s[2:3]
	v_add_f64 v[81:82], v[85:86], v[81:82]
	v_fma_f64 v[91:92], v[20:21], s[4:5], v[87:88]
	v_fma_f64 v[85:86], v[20:21], s[4:5], -v[87:88]
	v_add_f64 v[79:80], v[91:92], v[79:80]
	v_mul_f64 v[91:92], v[117:118], s[10:11]
	v_add_f64 v[83:84], v[85:86], v[83:84]
	v_fma_f64 v[105:106], v[42:43], s[8:9], -v[91:92]
	v_fma_f64 v[85:86], v[42:43], s[8:9], v[91:92]
	v_mul_f64 v[91:92], v[123:124], s[24:25]
	v_mul_f64 v[123:124], v[123:124], s[2:3]
	v_add_f64 v[77:78], v[105:106], v[77:78]
	v_mul_f64 v[105:106], v[115:116], s[10:11]
	s_mov_b32 s11, 0x3fea55e2
	s_mov_b32 s10, s14
	v_add_f64 v[81:82], v[85:86], v[81:82]
	v_fma_f64 v[158:159], v[40:41], s[8:9], v[105:106]
	v_fma_f64 v[85:86], v[40:41], s[8:9], -v[105:106]
	v_mul_f64 v[105:106], v[125:126], s[24:25]
	v_mul_f64 v[125:126], v[125:126], s[2:3]
	v_add_f64 v[79:80], v[158:159], v[79:80]
	v_mul_f64 v[158:159], v[59:60], s[20:21]
	v_add_f64 v[83:84], v[85:86], v[83:84]
	v_fma_f64 v[160:161], v[30:31], s[34:35], -v[158:159]
	v_fma_f64 v[85:86], v[30:31], s[34:35], v[158:159]
	v_add_f64 v[77:78], v[160:161], v[77:78]
	v_mul_f64 v[160:161], v[57:58], s[20:21]
	v_add_f64 v[81:82], v[85:86], v[81:82]
	v_fma_f64 v[162:163], v[28:29], s[34:35], v[160:161]
	v_fma_f64 v[85:86], v[28:29], s[34:35], -v[160:161]
	v_add_f64 v[79:80], v[162:163], v[79:80]
	v_mul_f64 v[162:163], v[55:56], s[10:11]
	v_add_f64 v[83:84], v[85:86], v[83:84]
	v_fma_f64 v[164:165], v[36:37], s[6:7], -v[162:163]
	v_fma_f64 v[85:86], v[36:37], s[6:7], v[162:163]
	v_add_f64 v[77:78], v[164:165], v[77:78]
	v_mul_f64 v[164:165], v[53:54], s[10:11]
	v_add_f64 v[81:82], v[85:86], v[81:82]
	v_fma_f64 v[85:86], v[51:52], s[8:9], -v[91:92]
	v_fma_f64 v[87:88], v[38:39], s[6:7], -v[164:165]
	v_fma_f64 v[166:167], v[38:39], s[6:7], v[164:165]
	v_add_f64 v[85:86], v[85:86], v[111:112]
	v_add_f64 v[83:84], v[87:88], v[83:84]
	v_fma_f64 v[87:88], v[49:50], s[8:9], v[105:106]
	v_add_f64 v[79:80], v[166:167], v[79:80]
	v_add_f64 v[87:88], v[87:88], v[93:94]
	v_mul_f64 v[93:94], v[129:130], s[14:15]
	v_mul_f64 v[129:130], v[129:130], s[22:23]
	v_fma_f64 v[107:108], v[22:23], s[6:7], -v[93:94]
	v_add_f64 v[85:86], v[107:108], v[85:86]
	v_mul_f64 v[107:108], v[127:128], s[14:15]
	v_mul_f64 v[127:128], v[127:128], s[22:23]
	v_fma_f64 v[109:110], v[20:21], s[6:7], v[107:108]
	v_add_f64 v[87:88], v[109:110], v[87:88]
	v_mul_f64 v[109:110], v[117:118], s[20:21]
	v_mul_f64 v[117:118], v[117:118], s[10:11]
	v_fma_f64 v[111:112], v[42:43], s[34:35], -v[109:110]
	v_add_f64 v[85:86], v[111:112], v[85:86]
	v_mul_f64 v[111:112], v[115:116], s[20:21]
	v_mul_f64 v[115:116], v[115:116], s[10:11]
	v_fma_f64 v[158:159], v[40:41], s[34:35], v[111:112]
	;; [unrolled: 8-line block ×3, first 2 shown]
	v_add_f64 v[87:88], v[162:163], v[87:88]
	v_mul_f64 v[162:163], v[55:56], s[26:27]
	v_fma_f64 v[164:165], v[36:37], s[12:13], -v[162:163]
	v_add_f64 v[85:86], v[164:165], v[85:86]
	v_mul_f64 v[164:165], v[53:54], s[26:27]
	v_fma_f64 v[166:167], v[38:39], s[12:13], v[164:165]
	v_add_f64 v[87:88], v[166:167], v[87:88]
	v_fma_f64 v[166:167], v[51:52], s[4:5], -v[123:124]
	v_add_f64 v[113:114], v[166:167], v[113:114]
	v_fma_f64 v[166:167], v[49:50], s[4:5], v[125:126]
	v_add_f64 v[95:96], v[166:167], v[95:96]
	v_fma_f64 v[166:167], v[22:23], vcc, -v[129:130]
	v_add_f64 v[113:114], v[166:167], v[113:114]
	v_fma_f64 v[166:167], v[20:21], vcc, v[127:128]
	v_add_f64 v[95:96], v[166:167], v[95:96]
	v_fma_f64 v[166:167], v[42:43], s[6:7], -v[117:118]
	v_add_f64 v[113:114], v[166:167], v[113:114]
	v_fma_f64 v[166:167], v[40:41], s[6:7], v[115:116]
	v_add_f64 v[95:96], v[166:167], v[95:96]
	v_fma_f64 v[166:167], v[30:31], s[12:13], -v[59:60]
	v_fma_f64 v[59:60], v[30:31], s[12:13], v[59:60]
	v_add_f64 v[113:114], v[166:167], v[113:114]
	v_fma_f64 v[166:167], v[28:29], s[12:13], v[57:58]
	v_fma_f64 v[57:58], v[28:29], s[12:13], -v[57:58]
	v_add_f64 v[95:96], v[166:167], v[95:96]
	v_mul_f64 v[166:167], v[55:56], s[24:25]
	v_fma_f64 v[55:56], v[38:39], s[8:9], v[168:169]
	v_fma_f64 v[53:54], v[36:37], s[8:9], -v[166:167]
	v_add_f64 v[55:56], v[55:56], v[95:96]
	v_fma_f64 v[95:96], v[51:52], s[4:5], v[123:124]
	v_add_f64 v[53:54], v[53:54], v[113:114]
	v_add_f64 v[63:64], v[95:96], v[63:64]
	v_fma_f64 v[95:96], v[49:50], s[4:5], -v[125:126]
	v_add_f64 v[61:62], v[95:96], v[61:62]
	v_fma_f64 v[95:96], v[22:23], vcc, v[129:130]
	v_add_f64 v[63:64], v[95:96], v[63:64]
	v_fma_f64 v[95:96], v[20:21], vcc, -v[127:128]
	v_add_f64 v[61:62], v[95:96], v[61:62]
	v_fma_f64 v[95:96], v[42:43], s[6:7], v[117:118]
	v_add_f64 v[63:64], v[95:96], v[63:64]
	v_fma_f64 v[95:96], v[40:41], s[6:7], -v[115:116]
	v_add_f64 v[59:60], v[59:60], v[63:64]
	v_add_f64 v[61:62], v[95:96], v[61:62]
	v_fma_f64 v[63:64], v[38:39], s[8:9], -v[168:169]
	v_add_f64 v[61:62], v[57:58], v[61:62]
	v_fma_f64 v[57:58], v[36:37], s[8:9], v[166:167]
	v_add_f64 v[57:58], v[57:58], v[59:60]
	v_add_f64 v[59:60], v[63:64], v[61:62]
	;; [unrolled: 1-line block ×3, first 2 shown]
	v_fma_f64 v[6:7], v[51:52], s[8:9], v[91:92]
	v_fma_f64 v[71:72], v[49:50], s[8:9], -v[105:106]
	v_add_f64 v[61:62], v[69:70], v[4:5]
	v_fma_f64 v[4:5], v[51:52], s[12:13], v[97:98]
	v_fma_f64 v[51:52], v[51:52], s[34:35], v[140:141]
	v_fma_f64 v[69:70], v[49:50], s[12:13], -v[99:100]
	v_fma_f64 v[49:50], v[49:50], s[34:35], -v[142:143]
	;; [unrolled: 1-line block ×3, first 2 shown]
	v_add_f64 v[2:3], v[63:64], v[2:3]
	v_add_f64 v[6:7], v[6:7], v[46:47]
	v_fma_f64 v[46:47], v[22:23], s[6:7], v[93:94]
	v_add_f64 v[44:45], v[71:72], v[44:45]
	v_add_f64 v[4:5], v[4:5], v[34:35]
	v_fma_f64 v[34:35], v[22:23], s[34:35], v[101:102]
	v_fma_f64 v[22:23], v[22:23], s[12:13], v[89:90]
	v_fma_f64 v[89:90], v[20:21], s[34:35], -v[103:104]
	v_fma_f64 v[20:21], v[20:21], s[12:13], -v[144:145]
	v_add_f64 v[26:27], v[51:52], v[26:27]
	v_add_f64 v[32:33], v[49:50], v[32:33]
	;; [unrolled: 1-line block ×3, first 2 shown]
	v_fma_f64 v[51:52], v[40:41], s[34:35], -v[111:112]
	v_fma_f64 v[49:50], v[40:41], vcc, -v[134:135]
	v_fma_f64 v[40:41], v[40:41], s[4:5], -v[148:149]
	v_add_f64 v[0:1], v[61:62], v[0:1]
	v_add_f64 v[6:7], v[46:47], v[6:7]
	v_fma_f64 v[46:47], v[42:43], s[34:35], v[109:110]
	v_add_f64 v[44:45], v[91:92], v[44:45]
	v_add_f64 v[4:5], v[34:35], v[4:5]
	v_fma_f64 v[34:35], v[42:43], vcc, v[131:132]
	v_fma_f64 v[42:43], v[42:43], s[4:5], v[146:147]
	v_add_f64 v[22:23], v[22:23], v[26:27]
	v_add_f64 v[20:21], v[20:21], v[32:33]
	;; [unrolled: 1-line block ×3, first 2 shown]
	v_fma_f64 v[32:33], v[30:31], s[4:5], v[158:159]
	v_fma_f64 v[26:27], v[30:31], s[8:9], v[65:66]
	;; [unrolled: 1-line block ×3, first 2 shown]
	v_add_f64 v[6:7], v[46:47], v[6:7]
	v_fma_f64 v[46:47], v[28:29], s[4:5], -v[160:161]
	v_add_f64 v[44:45], v[51:52], v[44:45]
	v_add_f64 v[4:5], v[34:35], v[4:5]
	v_fma_f64 v[34:35], v[28:29], s[8:9], -v[67:68]
	v_fma_f64 v[28:29], v[28:29], s[6:7], -v[152:153]
	v_add_f64 v[22:23], v[42:43], v[22:23]
	v_add_f64 v[20:21], v[40:41], v[20:21]
	;; [unrolled: 1-line block ×3, first 2 shown]
	v_fma_f64 v[42:43], v[38:39], s[12:13], -v[164:165]
	v_fma_f64 v[40:41], v[38:39], s[4:5], -v[138:139]
	v_fma_f64 v[38:39], v[38:39], vcc, -v[156:157]
	v_add_f64 v[6:7], v[32:33], v[6:7]
	v_fma_f64 v[32:33], v[36:37], s[12:13], v[162:163]
	v_add_f64 v[44:45], v[46:47], v[44:45]
	v_add_f64 v[4:5], v[26:27], v[4:5]
	v_fma_f64 v[26:27], v[36:37], s[4:5], v[136:137]
	v_fma_f64 v[36:37], v[36:37], vcc, v[154:155]
	v_add_f64 v[30:31], v[30:31], v[22:23]
	v_add_f64 v[28:29], v[28:29], v[20:21]
	;; [unrolled: 1-line block ×9, first 2 shown]
	ds_write_b128 v133, v[12:15] offset:16
	ds_write_b128 v133, v[16:19] offset:32
	;; [unrolled: 1-line block ×12, first 2 shown]
	ds_write_b128 v133, v[0:3]
	s_waitcnt lgkmcnt(0)
	s_barrier
	buffer_gl0_inv
	ds_read_b128 v[0:3], v133 offset:64
	ds_read_b128 v[4:7], v133 offset:80
	;; [unrolled: 1-line block ×6, first 2 shown]
	s_load_dwordx16 s[84:99], s[84:85], 0x100
	s_waitcnt lgkmcnt(0)
	v_mul_f64 v[24:25], v[18:19], s[86:87]
	v_mul_f64 v[26:27], v[16:17], s[86:87]
	v_mul_f64 v[28:29], v[2:3], s[90:91]
	v_mul_f64 v[30:31], v[0:1], s[90:91]
	v_mul_f64 v[32:33], v[6:7], s[94:95]
	v_mul_f64 v[34:35], v[4:5], s[94:95]
	v_mul_f64 v[36:37], v[10:11], s[98:99]
	v_mul_f64 v[38:39], v[8:9], s[98:99]
	v_fma_f64 v[16:17], v[16:17], s[84:85], -v[24:25]
	v_fma_f64 v[18:19], v[18:19], s[84:85], v[26:27]
	v_fma_f64 v[0:1], v[0:1], s[88:89], -v[28:29]
	v_fma_f64 v[2:3], v[2:3], s[88:89], v[30:31]
	;; [unrolled: 2-line block ×4, first 2 shown]
	ds_read_b128 v[24:27], v133 offset:128
	ds_read_b128 v[28:31], v133 offset:144
	;; [unrolled: 1-line block ×4, first 2 shown]
	s_load_dwordx16 s[84:99], s[0:1], 0x140
	s_waitcnt lgkmcnt(0)
	v_mul_f64 v[40:41], v[14:15], s[86:87]
	v_mul_f64 v[42:43], v[12:13], s[86:87]
	;; [unrolled: 1-line block ×8, first 2 shown]
	v_fma_f64 v[12:13], v[12:13], s[84:85], -v[40:41]
	v_fma_f64 v[14:15], v[14:15], s[84:85], v[42:43]
	v_fma_f64 v[24:25], v[24:25], s[88:89], -v[44:45]
	v_fma_f64 v[26:27], v[26:27], s[88:89], v[46:47]
	ds_read_b128 v[40:43], v133 offset:192
	s_load_dwordx8 s[84:91], s[0:1], 0x180
	v_fma_f64 v[28:29], v[28:29], s[92:93], -v[49:50]
	v_fma_f64 v[30:31], v[30:31], s[92:93], v[51:52]
	v_fma_f64 v[32:33], v[32:33], s[96:97], -v[53:54]
	v_fma_f64 v[34:35], v[34:35], s[96:97], v[55:56]
	s_mov_b32 s0, 0x4267c47c
	s_mov_b32 s1, 0xbfddbe06
	s_waitcnt lgkmcnt(0)
	v_mul_f64 v[44:45], v[38:39], s[86:87]
	v_mul_f64 v[46:47], v[36:37], s[86:87]
	;; [unrolled: 1-line block ×4, first 2 shown]
	v_fma_f64 v[36:37], v[36:37], s[84:85], -v[44:45]
	v_fma_f64 v[38:39], v[38:39], s[84:85], v[46:47]
	v_fma_f64 v[40:41], v[40:41], s[88:89], -v[49:50]
	v_fma_f64 v[42:43], v[42:43], s[88:89], v[51:52]
	ds_read_b128 v[44:47], v133
	ds_read_b128 v[49:52], v133 offset:16
	v_readlane_b32 s84, v210, 2
	v_readlane_b32 s90, v210, 8
	;; [unrolled: 1-line block ×11, first 2 shown]
	v_mul_f64 v[61:62], v[22:23], s[98:99]
	v_mul_f64 v[63:64], v[20:21], s[98:99]
	v_readlane_b32 s96, v210, 14
	v_readlane_b32 s97, v210, 15
	;; [unrolled: 1-line block ×5, first 2 shown]
	s_waitcnt lgkmcnt(1)
	v_mul_f64 v[53:54], v[46:47], s[90:91]
	v_mul_f64 v[57:58], v[44:45], s[90:91]
	s_waitcnt lgkmcnt(0)
	v_mul_f64 v[55:56], v[51:52], s[94:95]
	v_mul_f64 v[59:60], v[49:50], s[94:95]
	v_fma_f64 v[20:21], v[20:21], s[96:97], -v[61:62]
	v_fma_f64 v[22:23], v[22:23], s[96:97], v[63:64]
	v_fma_f64 v[44:45], v[44:45], s[88:89], -v[53:54]
	v_fma_f64 v[46:47], v[46:47], s[88:89], v[57:58]
	;; [unrolled: 2-line block ×3, first 2 shown]
	ds_write_b128 v133, v[44:47]
	ds_write_b128 v133, v[49:52] offset:16
	ds_write_b128 v133, v[20:23] offset:32
	;; [unrolled: 1-line block ×12, first 2 shown]
	s_waitcnt lgkmcnt(0)
	s_barrier
	buffer_gl0_inv
	ds_read_b128 v[0:3], v133 offset:16
	ds_read_b128 v[4:7], v133 offset:32
	;; [unrolled: 1-line block ×12, first 2 shown]
	ds_read_b128 v[134:137], v133
	s_waitcnt lgkmcnt(9)
	v_add_f64 v[138:139], v[2:3], v[14:15]
	v_add_f64 v[140:141], v[2:3], -v[14:15]
	s_waitcnt lgkmcnt(8)
	v_add_f64 v[81:82], v[6:7], v[18:19]
	v_add_f64 v[83:84], v[6:7], -v[18:19]
	s_waitcnt lgkmcnt(7)
	v_add_f64 v[79:80], v[10:11], v[22:23]
	s_waitcnt lgkmcnt(4)
	v_add_f64 v[67:68], v[26:27], v[30:31]
	;; [unrolled: 2-line block ×3, first 2 shown]
	v_add_f64 v[142:143], v[0:1], -v[12:13]
	s_waitcnt lgkmcnt(1)
	v_add_f64 v[63:64], v[46:47], v[42:43]
	s_waitcnt lgkmcnt(0)
	v_add_f64 v[196:197], v[134:135], v[0:1]
	v_add_f64 v[2:3], v[136:137], v[2:3]
	v_add_f64 v[57:58], v[4:5], -v[16:17]
	v_add_f64 v[55:56], v[8:9], -v[20:21]
	;; [unrolled: 1-line block ×6, first 2 shown]
	v_add_f64 v[204:205], v[4:5], v[16:17]
	v_add_f64 v[202:203], v[8:9], v[20:21]
	v_add_f64 v[75:76], v[26:27], -v[30:31]
	v_add_f64 v[200:201], v[24:25], v[28:29]
	v_add_f64 v[69:70], v[34:35], -v[38:39]
	v_mul_f64 v[144:145], v[138:139], s[4:5]
	v_mul_f64 v[170:171], v[138:139], s[12:13]
	;; [unrolled: 1-line block ×9, first 2 shown]
	v_add_f64 v[196:197], v[196:197], v[4:5]
	v_add_f64 v[2:3], v[2:3], v[6:7]
	v_mul_f64 v[176:177], v[79:80], s[12:13]
	v_mul_f64 v[178:179], v[113:114], s[12:13]
	;; [unrolled: 1-line block ×4, first 2 shown]
	v_mul_f64 v[162:163], v[138:139], vcc
	v_mul_f64 v[182:183], v[93:94], s[16:17]
	v_mul_f64 v[152:153], v[138:139], s[34:35]
	v_add_f64 v[198:199], v[32:33], v[36:37]
	v_mul_f64 v[206:207], v[79:80], s[8:9]
	v_mul_f64 v[61:62], v[113:114], vcc
	v_mul_f64 v[208:209], v[75:76], s[26:27]
	v_fma_f64 v[148:149], v[142:143], s[0:1], v[144:145]
	v_fma_f64 v[184:185], v[142:143], s[16:17], v[170:171]
	;; [unrolled: 1-line block ×9, first 2 shown]
	v_add_f64 v[6:7], v[196:197], v[8:9]
	v_add_f64 v[2:3], v[2:3], v[10:11]
	v_fma_f64 v[190:191], v[55:56], s[16:17], v[176:177]
	v_fma_f64 v[192:193], v[51:52], s[16:17], v[178:179]
	;; [unrolled: 1-line block ×3, first 2 shown]
	s_mov_b32 s16, 0x66966769
	s_mov_b32 s0, 0x4bc48dbf
	;; [unrolled: 1-line block ×4, first 2 shown]
	v_mul_f64 v[8:9], v[140:141], s[16:17]
	v_mul_f64 v[10:11], v[140:141], s[26:27]
	v_fma_f64 v[166:167], v[142:143], s[18:19], v[162:163]
	v_fma_f64 v[156:157], v[142:143], s[20:21], v[152:153]
	v_add_f64 v[196:197], v[44:45], v[40:41]
	v_fma_f64 v[168:169], v[51:52], s[18:19], v[61:62]
	v_mul_f64 v[154:155], v[79:80], s[34:35]
	v_mul_f64 v[129:130], v[75:76], s[18:19]
	v_mul_f64 v[164:165], v[67:68], vcc
	v_mul_f64 v[117:118], v[81:82], s[34:35]
	v_mul_f64 v[119:120], v[63:64], vcc
	;; [unrolled: 2-line block ×3, first 2 shown]
	v_add_f64 v[6:7], v[6:7], v[24:25]
	v_add_f64 v[2:3], v[2:3], v[26:27]
	v_mul_f64 v[99:100], v[69:70], s[20:21]
	v_mul_f64 v[105:106], v[113:114], s[34:35]
	;; [unrolled: 1-line block ×3, first 2 shown]
	v_mul_f64 v[71:72], v[79:80], vcc
	v_mul_f64 v[95:96], v[67:68], s[34:35]
	v_fma_f64 v[65:66], v[57:58], s[2:3], v[65:66]
	v_mul_f64 v[59:60], v[63:64], s[34:35]
	v_add_f64 v[156:157], v[136:137], v[156:157]
	v_fma_f64 v[158:159], v[55:56], s[20:21], v[154:155]
	v_fma_f64 v[131:132], v[53:54], s[18:19], v[164:165]
	;; [unrolled: 1-line block ×5, first 2 shown]
	v_add_f64 v[6:7], v[6:7], v[32:33]
	v_add_f64 v[2:3], v[2:3], v[34:35]
	v_fma_f64 v[32:33], v[142:143], s[2:3], v[144:145]
	v_fma_f64 v[101:102], v[51:52], s[20:21], v[105:106]
	;; [unrolled: 1-line block ×6, first 2 shown]
	v_add_f64 v[6:7], v[6:7], v[44:45]
	v_add_f64 v[2:3], v[2:3], v[46:47]
	v_add_f64 v[46:47], v[46:47], -v[42:43]
	v_add_f64 v[32:33], v[136:137], v[32:33]
	v_add_f64 v[6:7], v[6:7], v[40:41]
	;; [unrolled: 1-line block ×3, first 2 shown]
	v_fma_f64 v[40:41], v[142:143], s[22:23], v[162:163]
	v_fma_f64 v[42:43], v[142:143], s[0:1], v[152:153]
	v_add_f64 v[6:7], v[6:7], v[36:37]
	v_add_f64 v[2:3], v[2:3], v[38:39]
	v_fma_f64 v[38:39], v[142:143], s[26:27], v[170:171]
	v_mul_f64 v[170:171], v[81:82], s[6:7]
	v_add_f64 v[40:41], v[136:137], v[40:41]
	v_add_f64 v[6:7], v[6:7], v[28:29]
	v_add_f64 v[2:3], v[2:3], v[30:31]
	v_mul_f64 v[30:31], v[138:139], s[8:9]
	v_add_f64 v[38:39], v[136:137], v[38:39]
	v_add_f64 v[6:7], v[6:7], v[20:21]
	v_add_f64 v[2:3], v[2:3], v[22:23]
	v_fma_f64 v[36:37], v[142:143], s[24:25], v[30:31]
	v_fma_f64 v[30:31], v[142:143], s[16:17], v[30:31]
	v_add_f64 v[38:39], v[109:110], v[38:39]
	v_add_f64 v[4:5], v[6:7], v[16:17]
	;; [unrolled: 1-line block ×8, first 2 shown]
	v_mul_f64 v[4:5], v[140:141], s[14:15]
	v_mul_f64 v[12:13], v[140:141], s[22:23]
	;; [unrolled: 1-line block ×3, first 2 shown]
	v_fma_f64 v[16:17], v[6:7], s[4:5], v[146:147]
	v_fma_f64 v[18:19], v[6:7], s[4:5], -v[146:147]
	v_fma_f64 v[22:23], v[6:7], s[8:9], v[8:9]
	v_fma_f64 v[8:9], v[6:7], s[8:9], -v[8:9]
	;; [unrolled: 2-line block ×3, first 2 shown]
	v_add_f64 v[140:141], v[136:137], v[148:149]
	v_add_f64 v[148:149], v[136:137], v[166:167]
	v_mul_f64 v[166:167], v[83:84], s[14:15]
	v_fma_f64 v[20:21], v[6:7], s[6:7], v[4:5]
	v_fma_f64 v[4:5], v[6:7], s[6:7], -v[4:5]
	v_fma_f64 v[26:27], v[6:7], vcc, v[12:13]
	v_fma_f64 v[12:13], v[6:7], vcc, -v[12:13]
	v_fma_f64 v[28:29], v[6:7], s[34:35], v[14:15]
	v_fma_f64 v[6:7], v[6:7], s[34:35], -v[14:15]
	v_mul_f64 v[14:15], v[138:139], s[6:7]
	v_add_f64 v[16:17], v[134:135], v[16:17]
	v_add_f64 v[138:139], v[134:135], v[18:19]
	;; [unrolled: 1-line block ×10, first 2 shown]
	v_mul_f64 v[12:13], v[83:84], s[26:27]
	v_fma_f64 v[34:35], v[142:143], s[10:11], v[14:15]
	v_fma_f64 v[14:15], v[142:143], s[14:15], v[14:15]
	v_add_f64 v[142:143], v[136:137], v[184:185]
	v_mul_f64 v[184:185], v[93:94], s[16:17]
	v_add_f64 v[20:21], v[136:137], v[34:35]
	v_add_f64 v[34:35], v[134:135], v[4:5]
	v_fma_f64 v[4:5], v[204:205], s[6:7], v[166:167]
	v_add_f64 v[134:135], v[134:135], v[6:7]
	v_fma_f64 v[6:7], v[57:58], s[10:11], v[170:171]
	v_fma_f64 v[8:9], v[202:203], s[8:9], v[184:185]
	v_add_f64 v[14:15], v[136:137], v[14:15]
	v_add_f64 v[136:137], v[136:137], v[42:43]
	;; [unrolled: 1-line block ×4, first 2 shown]
	v_mul_f64 v[16:17], v[93:94], s[0:1]
	v_add_f64 v[6:7], v[6:7], v[32:33]
	v_add_f64 v[65:66], v[65:66], v[136:137]
	;; [unrolled: 1-line block ×4, first 2 shown]
	v_fma_f64 v[8:9], v[55:56], s[24:25], v[206:207]
	v_add_f64 v[65:66], v[71:72], v[65:66]
	v_add_f64 v[6:7], v[8:9], v[6:7]
	v_fma_f64 v[8:9], v[200:201], s[12:13], v[208:209]
	v_add_f64 v[6:7], v[186:187], v[6:7]
	v_mul_f64 v[186:187], v[69:70], s[22:23]
	v_add_f64 v[4:5], v[8:9], v[4:5]
	v_add_f64 v[6:7], v[168:169], v[6:7]
	v_fma_f64 v[8:9], v[198:199], vcc, v[186:187]
	v_mul_f64 v[168:169], v[46:47], s[0:1]
	v_add_f64 v[6:7], v[160:161], v[6:7]
	v_add_f64 v[4:5], v[8:9], v[4:5]
	v_fma_f64 v[8:9], v[196:197], s[34:35], v[168:169]
	v_add_f64 v[4:5], v[8:9], v[4:5]
	v_fma_f64 v[8:9], v[204:205], s[12:13], v[12:13]
	v_fma_f64 v[12:13], v[204:205], s[12:13], -v[12:13]
	v_add_f64 v[8:9], v[8:9], v[18:19]
	v_fma_f64 v[18:19], v[202:203], s[34:35], v[16:17]
	v_add_f64 v[12:13], v[12:13], v[34:35]
	v_fma_f64 v[16:17], v[202:203], s[34:35], -v[16:17]
	v_add_f64 v[8:9], v[18:19], v[8:9]
	v_fma_f64 v[18:19], v[200:201], vcc, v[129:130]
	v_add_f64 v[12:13], v[16:17], v[12:13]
	v_fma_f64 v[16:17], v[55:56], s[0:1], v[154:155]
	v_add_f64 v[8:9], v[18:19], v[8:9]
	v_fma_f64 v[18:19], v[53:54], s[22:23], v[164:165]
	v_add_f64 v[10:11], v[18:19], v[10:11]
	v_mul_f64 v[18:19], v[69:70], s[24:25]
	v_fma_f64 v[20:21], v[198:199], s[8:9], v[18:19]
	v_add_f64 v[8:9], v[20:21], v[8:9]
	v_mul_f64 v[20:21], v[113:114], s[8:9]
	;; [unrolled: 3-line block ×3, first 2 shown]
	v_add_f64 v[10:11], v[150:151], v[10:11]
	v_fma_f64 v[28:29], v[196:197], s[4:5], v[26:27]
	v_add_f64 v[8:9], v[28:29], v[8:9]
	v_fma_f64 v[28:29], v[57:58], s[26:27], v[174:175]
	v_add_f64 v[14:15], v[28:29], v[14:15]
	v_add_f64 v[14:15], v[16:17], v[14:15]
	v_fma_f64 v[16:17], v[200:201], vcc, -v[129:130]
	v_add_f64 v[14:15], v[131:132], v[14:15]
	v_add_f64 v[12:13], v[16:17], v[12:13]
	v_fma_f64 v[16:17], v[198:199], s[8:9], -v[18:19]
	v_fma_f64 v[18:19], v[49:50], s[2:3], v[123:124]
	v_add_f64 v[12:13], v[16:17], v[12:13]
	v_fma_f64 v[16:17], v[51:52], s[24:25], v[20:21]
	v_mul_f64 v[20:21], v[83:84], s[0:1]
	v_add_f64 v[14:15], v[16:17], v[14:15]
	v_fma_f64 v[16:17], v[196:197], s[4:5], -v[26:27]
	v_add_f64 v[14:15], v[18:19], v[14:15]
	v_add_f64 v[12:13], v[16:17], v[12:13]
	v_fma_f64 v[16:17], v[204:205], s[34:35], v[20:21]
	v_add_f64 v[18:19], v[125:126], v[36:37]
	v_fma_f64 v[20:21], v[204:205], s[34:35], -v[20:21]
	v_add_f64 v[16:17], v[16:17], v[22:23]
	v_fma_f64 v[22:23], v[202:203], s[12:13], v[182:183]
	v_add_f64 v[20:21], v[20:21], v[44:45]
	v_add_f64 v[16:17], v[22:23], v[16:17]
	v_fma_f64 v[22:23], v[55:56], s[26:27], v[176:177]
	v_add_f64 v[18:19], v[22:23], v[18:19]
	v_mul_f64 v[22:23], v[75:76], s[2:3]
	v_add_f64 v[18:19], v[121:122], v[18:19]
	v_fma_f64 v[26:27], v[200:201], s[4:5], v[22:23]
	v_fma_f64 v[22:23], v[200:201], s[4:5], -v[22:23]
	v_add_f64 v[16:17], v[26:27], v[16:17]
	v_mul_f64 v[26:27], v[69:70], s[14:15]
	v_fma_f64 v[28:29], v[198:199], s[6:7], v[26:27]
	v_fma_f64 v[26:27], v[198:199], s[6:7], -v[26:27]
	v_add_f64 v[16:17], v[28:29], v[16:17]
	v_mul_f64 v[28:29], v[113:114], s[6:7]
	v_fma_f64 v[32:33], v[51:52], s[10:11], v[28:29]
	v_add_f64 v[18:19], v[32:33], v[18:19]
	v_mul_f64 v[32:33], v[46:47], s[22:23]
	v_add_f64 v[18:19], v[127:128], v[18:19]
	v_fma_f64 v[34:35], v[196:197], vcc, v[32:33]
	v_add_f64 v[16:17], v[34:35], v[16:17]
	v_fma_f64 v[34:35], v[57:58], s[0:1], v[117:118]
	v_add_f64 v[30:31], v[34:35], v[30:31]
	v_fma_f64 v[34:35], v[202:203], s[12:13], -v[182:183]
	v_add_f64 v[30:31], v[190:191], v[30:31]
	v_add_f64 v[20:21], v[34:35], v[20:21]
	;; [unrolled: 1-line block ×3, first 2 shown]
	v_fma_f64 v[22:23], v[53:54], s[2:3], v[111:112]
	v_add_f64 v[20:21], v[26:27], v[20:21]
	v_add_f64 v[22:23], v[22:23], v[30:31]
	v_fma_f64 v[26:27], v[51:52], s[14:15], v[28:29]
	v_fma_f64 v[28:29], v[49:50], s[22:23], v[119:120]
	v_add_f64 v[22:23], v[26:27], v[22:23]
	v_fma_f64 v[26:27], v[196:197], vcc, -v[32:33]
	v_add_f64 v[22:23], v[28:29], v[22:23]
	v_add_f64 v[20:21], v[26:27], v[20:21]
	v_fma_f64 v[26:27], v[204:205], vcc, v[107:108]
	v_mul_f64 v[28:29], v[93:94], s[2:3]
	v_add_f64 v[24:25], v[26:27], v[24:25]
	v_fma_f64 v[30:31], v[202:203], s[4:5], v[28:29]
	v_fma_f64 v[26:27], v[57:58], s[22:23], v[115:116]
	v_fma_f64 v[28:29], v[202:203], s[4:5], -v[28:29]
	v_add_f64 v[24:25], v[30:31], v[24:25]
	v_mul_f64 v[30:31], v[75:76], s[16:17]
	v_add_f64 v[26:27], v[26:27], v[142:143]
	v_mul_f64 v[75:76], v[75:76], s[10:11]
	v_fma_f64 v[32:33], v[200:201], s[8:9], v[30:31]
	v_add_f64 v[26:27], v[103:104], v[26:27]
	v_fma_f64 v[30:31], v[200:201], s[8:9], -v[30:31]
	v_fma_f64 v[71:72], v[200:201], s[6:7], -v[75:76]
	v_add_f64 v[24:25], v[32:33], v[24:25]
	v_mul_f64 v[32:33], v[67:68], s[8:9]
	v_mul_f64 v[67:68], v[67:68], s[6:7]
	v_fma_f64 v[34:35], v[53:54], s[24:25], v[32:33]
	v_add_f64 v[26:27], v[34:35], v[26:27]
	v_fma_f64 v[34:35], v[198:199], s[34:35], v[99:100]
	v_add_f64 v[24:25], v[34:35], v[24:25]
	;; [unrolled: 2-line block ×3, first 2 shown]
	v_mul_f64 v[34:35], v[46:47], s[10:11]
	v_fma_f64 v[36:37], v[196:197], s[6:7], v[34:35]
	v_add_f64 v[24:25], v[36:37], v[24:25]
	v_mul_f64 v[36:37], v[63:64], s[6:7]
	v_mul_f64 v[63:64], v[63:64], s[8:9]
	v_fma_f64 v[42:43], v[49:50], s[14:15], v[36:37]
	v_add_f64 v[26:27], v[42:43], v[26:27]
	v_fma_f64 v[42:43], v[204:205], vcc, -v[107:108]
	v_add_f64 v[42:43], v[42:43], v[144:145]
	v_add_f64 v[28:29], v[28:29], v[42:43]
	v_fma_f64 v[42:43], v[55:56], s[2:3], v[97:98]
	v_add_f64 v[28:29], v[30:31], v[28:29]
	v_fma_f64 v[30:31], v[53:54], s[16:17], v[32:33]
	v_fma_f64 v[32:33], v[198:199], s[34:35], -v[99:100]
	v_add_f64 v[38:39], v[42:43], v[38:39]
	v_mul_f64 v[42:43], v[93:94], s[14:15]
	v_add_f64 v[28:29], v[32:33], v[28:29]
	v_fma_f64 v[32:33], v[196:197], s[6:7], -v[34:35]
	v_fma_f64 v[34:35], v[49:50], s[10:11], v[36:37]
	v_mul_f64 v[36:37], v[83:84], s[24:25]
	v_add_f64 v[30:31], v[30:31], v[38:39]
	v_mul_f64 v[38:39], v[81:82], s[8:9]
	v_fma_f64 v[44:45], v[202:203], s[6:7], v[42:43]
	v_add_f64 v[28:29], v[32:33], v[28:29]
	v_fma_f64 v[32:33], v[204:205], s[8:9], v[36:37]
	v_add_f64 v[30:31], v[101:102], v[30:31]
	v_fma_f64 v[36:37], v[204:205], s[8:9], -v[36:37]
	v_add_f64 v[32:33], v[32:33], v[146:147]
	v_add_f64 v[30:31], v[34:35], v[30:31]
	v_fma_f64 v[34:35], v[57:58], s[16:17], v[38:39]
	v_fma_f64 v[38:39], v[57:58], s[24:25], v[38:39]
	v_add_f64 v[36:37], v[36:37], v[152:153]
	v_fma_f64 v[57:58], v[57:58], s[14:15], v[170:171]
	v_add_f64 v[32:33], v[44:45], v[32:33]
	v_mul_f64 v[44:45], v[79:80], s[6:7]
	v_add_f64 v[34:35], v[34:35], v[148:149]
	v_add_f64 v[38:39], v[38:39], v[40:41]
	v_fma_f64 v[40:41], v[202:203], s[6:7], -v[42:43]
	v_fma_f64 v[42:43], v[49:50], s[26:27], v[180:181]
	v_add_f64 v[57:58], v[57:58], v[140:141]
	v_fma_f64 v[79:80], v[55:56], s[10:11], v[44:45]
	v_add_f64 v[36:37], v[40:41], v[36:37]
	v_fma_f64 v[40:41], v[55:56], s[14:15], v[44:45]
	v_mul_f64 v[44:45], v[83:84], s[2:3]
	v_fma_f64 v[55:56], v[55:56], s[16:17], v[206:207]
	v_add_f64 v[34:35], v[79:80], v[34:35]
	v_fma_f64 v[79:80], v[200:201], s[34:35], v[85:86]
	v_add_f64 v[38:39], v[40:41], v[38:39]
	v_fma_f64 v[40:41], v[200:201], s[34:35], -v[85:86]
	v_add_f64 v[55:56], v[55:56], v[57:58]
	v_fma_f64 v[57:58], v[200:201], s[12:13], -v[208:209]
	v_add_f64 v[32:33], v[79:80], v[32:33]
	v_fma_f64 v[79:80], v[53:54], s[0:1], v[95:96]
	v_add_f64 v[38:39], v[89:90], v[38:39]
	v_add_f64 v[36:37], v[40:41], v[36:37]
	;; [unrolled: 1-line block ×3, first 2 shown]
	v_mul_f64 v[79:80], v[69:70], s[2:3]
	v_mul_f64 v[69:70], v[69:70], s[26:27]
	v_add_f64 v[34:35], v[91:92], v[34:35]
	v_fma_f64 v[81:82], v[198:199], s[4:5], v[79:80]
	v_fma_f64 v[40:41], v[198:199], s[4:5], -v[79:80]
	v_add_f64 v[34:35], v[194:195], v[34:35]
	v_add_f64 v[32:33], v[81:82], v[32:33]
	v_mul_f64 v[81:82], v[46:47], s[26:27]
	v_add_f64 v[36:37], v[40:41], v[36:37]
	v_fma_f64 v[40:41], v[51:52], s[2:3], v[77:78]
	v_mul_f64 v[46:47], v[46:47], s[24:25]
	v_fma_f64 v[91:92], v[196:197], s[12:13], v[81:82]
	v_add_f64 v[38:39], v[40:41], v[38:39]
	v_fma_f64 v[40:41], v[196:197], s[12:13], -v[81:82]
	v_add_f64 v[32:33], v[91:92], v[32:33]
	v_add_f64 v[38:39], v[42:43], v[38:39]
	;; [unrolled: 1-line block ×3, first 2 shown]
	v_fma_f64 v[40:41], v[204:205], s[4:5], v[44:45]
	v_add_f64 v[42:43], v[73:74], v[156:157]
	v_mul_f64 v[73:74], v[93:94], s[22:23]
	v_fma_f64 v[44:45], v[204:205], s[4:5], -v[44:45]
	v_add_f64 v[40:41], v[40:41], v[162:163]
	v_add_f64 v[42:43], v[87:88], v[42:43]
	v_fma_f64 v[77:78], v[202:203], vcc, v[73:74]
	v_add_f64 v[44:45], v[44:45], v[134:135]
	v_fma_f64 v[73:74], v[202:203], vcc, -v[73:74]
	v_add_f64 v[40:41], v[77:78], v[40:41]
	v_fma_f64 v[77:78], v[200:201], s[6:7], v[75:76]
	v_add_f64 v[44:45], v[73:74], v[44:45]
	v_add_f64 v[40:41], v[77:78], v[40:41]
	v_fma_f64 v[77:78], v[53:54], s[14:15], v[67:68]
	v_fma_f64 v[67:68], v[53:54], s[10:11], v[67:68]
	v_add_f64 v[44:45], v[71:72], v[44:45]
	v_fma_f64 v[53:54], v[53:54], s[26:27], v[172:173]
	v_add_f64 v[42:43], v[77:78], v[42:43]
	;; [unrolled: 2-line block ×3, first 2 shown]
	v_fma_f64 v[67:68], v[198:199], s[12:13], -v[69:70]
	v_add_f64 v[53:54], v[53:54], v[55:56]
	v_fma_f64 v[55:56], v[198:199], vcc, -v[186:187]
	v_add_f64 v[42:43], v[192:193], v[42:43]
	v_add_f64 v[40:41], v[77:78], v[40:41]
	v_fma_f64 v[77:78], v[196:197], s[8:9], v[46:47]
	v_add_f64 v[44:45], v[67:68], v[44:45]
	v_fma_f64 v[67:68], v[51:52], s[26:27], v[178:179]
	v_fma_f64 v[46:47], v[196:197], s[8:9], -v[46:47]
	v_fma_f64 v[51:52], v[51:52], s[22:23], v[61:62]
	v_add_f64 v[40:41], v[77:78], v[40:41]
	v_fma_f64 v[77:78], v[49:50], s[16:17], v[63:64]
	v_add_f64 v[65:66], v[67:68], v[65:66]
	v_fma_f64 v[63:64], v[49:50], s[24:25], v[63:64]
	v_add_f64 v[44:45], v[46:47], v[44:45]
	v_add_f64 v[51:52], v[51:52], v[53:54]
	v_fma_f64 v[53:54], v[196:197], s[34:35], -v[168:169]
	v_add_f64 v[42:43], v[77:78], v[42:43]
	v_add_f64 v[46:47], v[63:64], v[65:66]
	v_fma_f64 v[63:64], v[204:205], s[6:7], -v[166:167]
	v_fma_f64 v[65:66], v[202:203], s[8:9], -v[184:185]
	v_add_f64 v[63:64], v[63:64], v[138:139]
	v_add_f64 v[63:64], v[65:66], v[63:64]
	;; [unrolled: 1-line block ×4, first 2 shown]
	v_fma_f64 v[57:58], v[49:50], s[0:1], v[59:60]
	v_readlane_b32 s0, v210, 0
	v_readlane_b32 s1, v210, 1
	s_load_dwordx2 s[2:3], s[0:1], 0x38
	s_mov_b32 s0, 0x13b13b14
	s_mov_b32 s1, 0x3fb3b13b
	v_add_f64 v[49:50], v[53:54], v[55:56]
	v_add_f64 v[51:52], v[57:58], v[51:52]
	ds_write_b128 v133, v[0:3]
	ds_write_b128 v133, v[4:7] offset:16
	ds_write_b128 v133, v[8:11] offset:32
	;; [unrolled: 1-line block ×12, first 2 shown]
	s_waitcnt lgkmcnt(0)
	s_barrier
	buffer_gl0_inv
	ds_read_b128 v[0:3], v133
	ds_read_b128 v[4:7], v133 offset:16
	ds_read_b128 v[8:11], v133 offset:32
	;; [unrolled: 1-line block ×3, first 2 shown]
	v_mad_u64_u32 v[24:25], null, s30, v48, 0
	s_waitcnt lgkmcnt(3)
	v_mul_f64 v[18:19], s[70:71], v[0:1]
	v_mul_f64 v[16:17], s[70:71], v[2:3]
	s_waitcnt lgkmcnt(2)
	v_mul_f64 v[20:21], s[74:75], v[6:7]
	v_mul_f64 v[22:23], s[74:75], v[4:5]
	;; [unrolled: 3-line block ×4, first 2 shown]
	v_fma_f64 v[26:27], s[68:69], v[2:3], -v[18:19]
	v_mov_b32_e32 v2, v25
	v_fma_f64 v[0:1], s[68:69], v[0:1], v[16:17]
	v_fma_f64 v[28:29], s[72:73], v[4:5], v[20:21]
	v_fma_f64 v[6:7], s[72:73], v[6:7], -v[22:23]
	v_mad_u64_u32 v[16:17], null, s31, v48, v[2:3]
	ds_read_b128 v[2:5], v133 offset:64
	v_fma_f64 v[14:15], s[80:81], v[14:15], -v[36:37]
	v_mov_b32_e32 v25, v16
	ds_read_b128 v[16:19], v133 offset:80
	v_mul_f64 v[22:23], v[26:27], s[0:1]
	v_mul_f64 v[20:21], v[0:1], s[0:1]
	v_lshlrev_b64 v[0:1], 4, v[24:25]
	v_mul_f64 v[24:25], v[28:29], s[0:1]
	v_fma_f64 v[28:29], s[76:77], v[8:9], v[30:31]
	v_fma_f64 v[30:31], s[76:77], v[10:11], -v[32:33]
	v_fma_f64 v[32:33], s[80:81], v[12:13], v[34:35]
	s_waitcnt lgkmcnt(1)
	v_mul_f64 v[34:35], s[54:55], v[4:5]
	v_mul_f64 v[26:27], v[6:7], s[0:1]
	;; [unrolled: 1-line block ×3, first 2 shown]
	ds_read_b128 v[6:9], v133 offset:96
	v_add_co_u32 v0, vcc_lo, s2, v0
	s_waitcnt lgkmcnt(1)
	v_mul_f64 v[40:41], s[58:59], v[16:17]
	v_mul_f64 v[38:39], s[58:59], v[18:19]
	v_add_co_ci_u32_e32 v1, vcc_lo, s3, v1, vcc_lo
	s_lshl_b64 s[2:3], s[28:29], 4
	v_add_co_u32 v10, vcc_lo, v0, s2
	v_mad_u64_u32 v[42:43], null, s28, 48, v[0:1]
	v_add_co_ci_u32_e32 v11, vcc_lo, s3, v1, vcc_lo
	global_store_dwordx4 v[0:1], v[20:23], off
	global_store_dwordx4 v[10:11], v[24:27], off
	v_fma_f64 v[34:35], s[52:53], v[2:3], v[34:35]
	v_mov_b32_e32 v2, v43
	v_mul_f64 v[10:11], v[28:29], s[0:1]
	v_mul_f64 v[12:13], v[30:31], s[0:1]
	ds_read_b128 v[24:27], v133 offset:112
	s_waitcnt lgkmcnt(1)
	v_mul_f64 v[44:45], s[62:63], v[6:7]
	v_mul_f64 v[20:21], v[32:33], s[0:1]
	;; [unrolled: 1-line block ×3, first 2 shown]
	v_fma_f64 v[36:37], s[52:53], v[4:5], -v[36:37]
	v_fma_f64 v[40:41], s[56:57], v[18:19], -v[40:41]
	v_mad_u64_u32 v[18:19], null, s29, 48, v[2:3]
	ds_read_b128 v[2:5], v133 offset:128
	v_fma_f64 v[38:39], s[56:57], v[16:17], v[38:39]
	ds_read_b128 v[14:17], v133 offset:144
	ds_read_b128 v[28:31], v133 offset:160
	s_lshl_b64 s[2:3], s[28:29], 5
	v_mul_f64 v[32:33], s[62:63], v[8:9]
	v_add_co_u32 v46, vcc_lo, v0, s2
	v_add_co_ci_u32_e32 v47, vcc_lo, s3, v1, vcc_lo
	v_mov_b32_e32 v43, v18
	global_store_dwordx4 v[46:47], v[10:13], off
	global_store_dwordx4 v[42:43], v[20:23], off
	s_waitcnt lgkmcnt(3)
	v_mul_f64 v[50:51], s[66:67], v[26:27]
	v_mul_f64 v[52:53], s[66:67], v[24:25]
	v_fma_f64 v[44:45], s[60:61], v[8:9], -v[44:45]
	s_waitcnt lgkmcnt(2)
	v_mul_f64 v[42:43], s[38:39], v[2:3]
	ds_read_b128 v[10:13], v133 offset:176
	ds_read_b128 v[18:21], v133 offset:192
	s_waitcnt lgkmcnt(3)
	v_mul_f64 v[46:47], s[42:43], v[16:17]
	v_mul_f64 v[54:55], s[42:43], v[14:15]
	v_mad_u64_u32 v[48:49], null, 0x50, s28, v[0:1]
	s_waitcnt lgkmcnt(2)
	v_mul_f64 v[58:59], s[46:47], v[28:29]
	v_mul_f64 v[56:57], s[46:47], v[30:31]
	v_fma_f64 v[32:33], s[60:61], v[6:7], v[32:33]
	v_mul_f64 v[8:9], v[36:37], s[0:1]
	v_mul_f64 v[36:37], s[38:39], v[4:5]
	;; [unrolled: 1-line block ×3, first 2 shown]
	v_mov_b32_e32 v22, v49
	s_lshl_b64 s[2:3], s[28:29], 6
	v_mad_u64_u32 v[60:61], null, 0x50, s29, v[22:23]
	v_fma_f64 v[49:50], s[64:65], v[24:25], v[50:51]
	v_fma_f64 v[26:27], s[64:65], v[26:27], -v[52:53]
	v_mul_f64 v[22:23], v[38:39], s[0:1]
	v_mul_f64 v[24:25], v[40:41], s[0:1]
	;; [unrolled: 1-line block ×3, first 2 shown]
	v_fma_f64 v[39:40], s[36:37], v[4:5], -v[42:43]
	s_waitcnt lgkmcnt(1)
	v_mul_f64 v[42:43], s[50:51], v[12:13]
	v_mul_f64 v[44:45], s[50:51], v[10:11]
	v_fma_f64 v[14:15], s[40:41], v[14:15], v[46:47]
	v_fma_f64 v[16:17], s[40:41], v[16:17], -v[54:55]
	s_waitcnt lgkmcnt(0)
	v_mul_f64 v[46:47], s[86:87], v[20:21]
	v_mul_f64 v[53:54], s[86:87], v[18:19]
	v_mad_u64_u32 v[51:52], null, 0x70, s28, v[0:1]
	v_mad_u64_u32 v[61:62], null, 0x60, s28, v[0:1]
	v_fma_f64 v[30:31], s[44:45], v[30:31], -v[58:59]
	v_fma_f64 v[28:29], s[44:45], v[28:29], v[56:57]
	v_mul_f64 v[32:33], v[32:33], s[0:1]
	v_fma_f64 v[36:37], s[36:37], v[2:3], v[36:37]
	v_mov_b32_e32 v41, v52
	v_mul_f64 v[2:3], v[49:50], s[0:1]
	v_mul_f64 v[4:5], v[26:27], s[0:1]
	v_mov_b32_e32 v38, v62
	v_mov_b32_e32 v49, v60
	v_mad_u64_u32 v[26:27], null, 0x70, s29, v[41:42]
	v_fma_f64 v[41:42], s[48:49], v[10:11], v[42:43]
	v_fma_f64 v[43:44], s[48:49], v[12:13], -v[44:45]
	v_fma_f64 v[18:19], s[84:85], v[18:19], v[46:47]
	v_fma_f64 v[20:21], s[84:85], v[20:21], -v[53:54]
	v_mad_u64_u32 v[55:56], null, 0x60, s29, v[38:39]
	v_add_co_u32 v56, vcc_lo, v0, s2
	v_add_co_ci_u32_e32 v57, vcc_lo, s3, v1, vcc_lo
	v_mov_b32_e32 v52, v26
	v_mad_u64_u32 v[26:27], null, 0x90, s28, v[0:1]
	v_mov_b32_e32 v62, v55
	v_mul_f64 v[12:13], v[30:31], s[0:1]
	v_mad_u64_u32 v[30:31], null, 0xc0, s28, v[0:1]
	global_store_dwordx4 v[56:57], v[6:9], off
	global_store_dwordx4 v[48:49], v[22:25], off
	;; [unrolled: 1-line block ×4, first 2 shown]
	v_mad_u64_u32 v[23:24], null, 0xa0, s28, v[0:1]
	v_mul_f64 v[10:11], v[28:29], s[0:1]
	v_mad_u64_u32 v[28:29], null, 0xb0, s28, v[0:1]
	v_mul_f64 v[2:3], v[36:37], s[0:1]
	v_mul_f64 v[4:5], v[39:40], s[0:1]
	;; [unrolled: 1-line block ×4, first 2 shown]
	v_mov_b32_e32 v22, v27
	v_mul_f64 v[14:15], v[41:42], s[0:1]
	v_mul_f64 v[16:17], v[43:44], s[0:1]
	v_mul_f64 v[18:19], v[18:19], s[0:1]
	v_mul_f64 v[20:21], v[20:21], s[0:1]
	v_mov_b32_e32 v25, v31
	v_mad_u64_u32 v[32:33], null, 0x90, s29, v[22:23]
	v_mov_b32_e32 v22, v29
	s_lshl_b64 s[2:3], s[28:29], 7
	v_mad_u64_u32 v[33:34], null, 0xa0, s29, v[24:25]
	v_add_co_u32 v0, vcc_lo, v0, s2
	v_mad_u64_u32 v[34:35], null, 0xb0, s29, v[22:23]
	v_mad_u64_u32 v[35:36], null, 0xc0, s29, v[25:26]
	v_add_co_ci_u32_e32 v1, vcc_lo, s3, v1, vcc_lo
	v_mov_b32_e32 v27, v32
	v_mov_b32_e32 v24, v33
	;; [unrolled: 1-line block ×4, first 2 shown]
	global_store_dwordx4 v[0:1], v[2:5], off
	global_store_dwordx4 v[26:27], v[6:9], off
	global_store_dwordx4 v[23:24], v[10:13], off
	global_store_dwordx4 v[28:29], v[14:17], off
	global_store_dwordx4 v[30:31], v[18:21], off
.LBB0_2:
	s_endpgm
	.section	.rodata,"a",@progbits
	.p2align	6, 0x0
	.amdhsa_kernel bluestein_single_fwd_len13_dim1_dp_op_CI_CI
		.amdhsa_group_segment_fixed_size 13312
		.amdhsa_private_segment_fixed_size 0
		.amdhsa_kernarg_size 104
		.amdhsa_user_sgpr_count 6
		.amdhsa_user_sgpr_private_segment_buffer 1
		.amdhsa_user_sgpr_dispatch_ptr 0
		.amdhsa_user_sgpr_queue_ptr 0
		.amdhsa_user_sgpr_kernarg_segment_ptr 1
		.amdhsa_user_sgpr_dispatch_id 0
		.amdhsa_user_sgpr_flat_scratch_init 0
		.amdhsa_user_sgpr_private_segment_size 0
		.amdhsa_wavefront_size32 1
		.amdhsa_uses_dynamic_stack 0
		.amdhsa_system_sgpr_private_segment_wavefront_offset 0
		.amdhsa_system_sgpr_workgroup_id_x 1
		.amdhsa_system_sgpr_workgroup_id_y 0
		.amdhsa_system_sgpr_workgroup_id_z 0
		.amdhsa_system_sgpr_workgroup_info 0
		.amdhsa_system_vgpr_workitem_id 0
		.amdhsa_next_free_vgpr 211
		.amdhsa_next_free_sgpr 100
		.amdhsa_reserve_vcc 1
		.amdhsa_reserve_flat_scratch 0
		.amdhsa_float_round_mode_32 0
		.amdhsa_float_round_mode_16_64 0
		.amdhsa_float_denorm_mode_32 3
		.amdhsa_float_denorm_mode_16_64 3
		.amdhsa_dx10_clamp 1
		.amdhsa_ieee_mode 1
		.amdhsa_fp16_overflow 0
		.amdhsa_workgroup_processor_mode 1
		.amdhsa_memory_ordered 1
		.amdhsa_forward_progress 0
		.amdhsa_shared_vgpr_count 0
		.amdhsa_exception_fp_ieee_invalid_op 0
		.amdhsa_exception_fp_denorm_src 0
		.amdhsa_exception_fp_ieee_div_zero 0
		.amdhsa_exception_fp_ieee_overflow 0
		.amdhsa_exception_fp_ieee_underflow 0
		.amdhsa_exception_fp_ieee_inexact 0
		.amdhsa_exception_int_div_zero 0
	.end_amdhsa_kernel
	.text
.Lfunc_end0:
	.size	bluestein_single_fwd_len13_dim1_dp_op_CI_CI, .Lfunc_end0-bluestein_single_fwd_len13_dim1_dp_op_CI_CI
                                        ; -- End function
	.section	.AMDGPU.csdata,"",@progbits
; Kernel info:
; codeLenInByte = 10796
; NumSgprs: 102
; NumVgprs: 211
; ScratchSize: 0
; MemoryBound: 0
; FloatMode: 240
; IeeeMode: 1
; LDSByteSize: 13312 bytes/workgroup (compile time only)
; SGPRBlocks: 12
; VGPRBlocks: 26
; NumSGPRsForWavesPerEU: 102
; NumVGPRsForWavesPerEU: 211
; Occupancy: 4
; WaveLimiterHint : 1
; COMPUTE_PGM_RSRC2:SCRATCH_EN: 0
; COMPUTE_PGM_RSRC2:USER_SGPR: 6
; COMPUTE_PGM_RSRC2:TRAP_HANDLER: 0
; COMPUTE_PGM_RSRC2:TGID_X_EN: 1
; COMPUTE_PGM_RSRC2:TGID_Y_EN: 0
; COMPUTE_PGM_RSRC2:TGID_Z_EN: 0
; COMPUTE_PGM_RSRC2:TIDIG_COMP_CNT: 0
	.text
	.p2alignl 6, 3214868480
	.fill 48, 4, 3214868480
	.type	__hip_cuid_2d9d0a448471567d,@object ; @__hip_cuid_2d9d0a448471567d
	.section	.bss,"aw",@nobits
	.globl	__hip_cuid_2d9d0a448471567d
__hip_cuid_2d9d0a448471567d:
	.byte	0                               ; 0x0
	.size	__hip_cuid_2d9d0a448471567d, 1

	.ident	"AMD clang version 19.0.0git (https://github.com/RadeonOpenCompute/llvm-project roc-6.4.0 25133 c7fe45cf4b819c5991fe208aaa96edf142730f1d)"
	.section	".note.GNU-stack","",@progbits
	.addrsig
	.addrsig_sym __hip_cuid_2d9d0a448471567d
	.amdgpu_metadata
---
amdhsa.kernels:
  - .args:
      - .actual_access:  read_only
        .address_space:  global
        .offset:         0
        .size:           8
        .value_kind:     global_buffer
      - .actual_access:  read_only
        .address_space:  global
        .offset:         8
        .size:           8
        .value_kind:     global_buffer
      - .actual_access:  read_only
        .address_space:  global
        .offset:         16
        .size:           8
        .value_kind:     global_buffer
      - .actual_access:  read_only
        .address_space:  global
        .offset:         24
        .size:           8
        .value_kind:     global_buffer
      - .actual_access:  read_only
        .address_space:  global
        .offset:         32
        .size:           8
        .value_kind:     global_buffer
      - .offset:         40
        .size:           8
        .value_kind:     by_value
      - .address_space:  global
        .offset:         48
        .size:           8
        .value_kind:     global_buffer
      - .address_space:  global
        .offset:         56
        .size:           8
        .value_kind:     global_buffer
      - .address_space:  global
        .offset:         64
        .size:           8
        .value_kind:     global_buffer
      - .address_space:  global
        .offset:         72
        .size:           8
        .value_kind:     global_buffer
      - .offset:         80
        .size:           4
        .value_kind:     by_value
      - .address_space:  global
        .offset:         88
        .size:           8
        .value_kind:     global_buffer
      - .address_space:  global
        .offset:         96
        .size:           8
        .value_kind:     global_buffer
    .group_segment_fixed_size: 13312
    .kernarg_segment_align: 8
    .kernarg_segment_size: 104
    .language:       OpenCL C
    .language_version:
      - 2
      - 0
    .max_flat_workgroup_size: 64
    .name:           bluestein_single_fwd_len13_dim1_dp_op_CI_CI
    .private_segment_fixed_size: 0
    .sgpr_count:     102
    .sgpr_spill_count: 18
    .symbol:         bluestein_single_fwd_len13_dim1_dp_op_CI_CI.kd
    .uniform_work_group_size: 1
    .uses_dynamic_stack: false
    .vgpr_count:     211
    .vgpr_spill_count: 0
    .wavefront_size: 32
    .workgroup_processor_mode: 1
amdhsa.target:   amdgcn-amd-amdhsa--gfx1030
amdhsa.version:
  - 1
  - 2
...

	.end_amdgpu_metadata
